;; amdgpu-corpus repo=ROCm/rocFFT kind=compiled arch=gfx950 opt=O3
	.text
	.amdgcn_target "amdgcn-amd-amdhsa--gfx950"
	.amdhsa_code_object_version 6
	.protected	fft_rtc_back_len280_factors_8_5_7_wgs_392_tpt_56_sp_ip_CI_sbcc_twdbase8_2step ; -- Begin function fft_rtc_back_len280_factors_8_5_7_wgs_392_tpt_56_sp_ip_CI_sbcc_twdbase8_2step
	.globl	fft_rtc_back_len280_factors_8_5_7_wgs_392_tpt_56_sp_ip_CI_sbcc_twdbase8_2step
	.p2align	8
	.type	fft_rtc_back_len280_factors_8_5_7_wgs_392_tpt_56_sp_ip_CI_sbcc_twdbase8_2step,@function
fft_rtc_back_len280_factors_8_5_7_wgs_392_tpt_56_sp_ip_CI_sbcc_twdbase8_2step: ; @fft_rtc_back_len280_factors_8_5_7_wgs_392_tpt_56_sp_ip_CI_sbcc_twdbase8_2step
; %bb.0:
	s_load_dwordx4 s[12:15], s[0:1], 0x18
	s_mov_b32 s3, 0
	s_mov_b64 s[26:27], 0
	s_waitcnt lgkmcnt(0)
	s_load_dwordx2 s[20:21], s[12:13], 0x8
	s_waitcnt lgkmcnt(0)
	s_add_u32 s4, s20, -1
	s_addc_u32 s5, s21, -1
	s_add_u32 s6, 0, 0x92481000
	s_addc_u32 s7, 0, 0x64
	s_mul_hi_u32 s9, s6, -7
	s_add_i32 s7, s7, 0x249248c0
	s_sub_i32 s9, s9, s6
	s_mul_i32 s16, s7, -7
	s_mul_i32 s8, s6, -7
	s_add_i32 s9, s9, s16
	s_mul_hi_u32 s10, s7, s8
	s_mul_i32 s11, s7, s8
	s_mul_i32 s17, s6, s9
	s_mul_hi_u32 s8, s6, s8
	s_mul_hi_u32 s16, s6, s9
	s_add_u32 s8, s8, s17
	s_addc_u32 s16, 0, s16
	s_add_u32 s8, s8, s11
	s_mul_hi_u32 s17, s7, s9
	s_addc_u32 s8, s16, s10
	s_addc_u32 s10, s17, 0
	s_mul_i32 s9, s7, s9
	s_add_u32 s8, s8, s9
	v_mov_b32_e32 v1, s8
	s_addc_u32 s9, 0, s10
	v_add_co_u32_e32 v1, vcc, s6, v1
	s_cmp_lg_u64 vcc, 0
	s_addc_u32 s6, s7, s9
	v_readfirstlane_b32 s9, v1
	s_mul_i32 s8, s4, s6
	s_mul_hi_u32 s10, s4, s9
	s_mul_hi_u32 s7, s4, s6
	s_add_u32 s8, s10, s8
	s_addc_u32 s7, 0, s7
	s_mul_hi_u32 s11, s5, s9
	s_mul_i32 s9, s5, s9
	s_add_u32 s8, s8, s9
	s_mul_hi_u32 s10, s5, s6
	s_addc_u32 s7, s7, s11
	s_addc_u32 s8, s10, 0
	s_mul_i32 s6, s5, s6
	s_add_u32 s6, s7, s6
	s_addc_u32 s7, 0, s8
	s_add_u32 s8, s6, 1
	s_addc_u32 s9, s7, 0
	s_add_u32 s10, s6, 2
	s_mul_i32 s16, s7, 7
	s_mul_hi_u32 s17, s6, 7
	s_addc_u32 s11, s7, 0
	s_add_i32 s17, s17, s16
	s_mul_i32 s16, s6, 7
	v_mov_b32_e32 v1, s16
	v_sub_co_u32_e32 v1, vcc, s4, v1
	s_cmp_lg_u64 vcc, 0
	s_subb_u32 s4, s5, s17
	v_subrev_co_u32_e32 v2, vcc, 7, v1
	s_cmp_lg_u64 vcc, 0
	s_subb_u32 s5, s4, 0
	v_readfirstlane_b32 s16, v2
	s_cmp_gt_u32 s16, 6
	s_cselect_b32 s16, -1, 0
	s_cmp_eq_u32 s5, 0
	s_cselect_b32 s5, s16, -1
	s_cmp_lg_u32 s5, 0
	s_cselect_b32 s5, s10, s8
	s_cselect_b32 s8, s11, s9
	v_readfirstlane_b32 s9, v1
	s_cmp_gt_u32 s9, 6
	s_cselect_b32 s9, -1, 0
	s_cmp_eq_u32 s4, 0
	s_cselect_b32 s4, s9, -1
	s_cmp_lg_u32 s4, 0
	s_cselect_b32 s5, s5, s6
	s_cselect_b32 s4, s8, s7
	s_add_u32 s24, s5, 1
	s_addc_u32 s25, s4, 0
	v_mov_b64_e32 v[2:3], s[24:25]
	v_cmp_lt_u64_e32 vcc, s[2:3], v[2:3]
	s_cbranch_vccnz .LBB0_2
; %bb.1:
	v_cvt_f32_u32_e32 v1, s24
	s_sub_i32 s4, 0, s24
	s_mov_b32 s27, s3
	v_rcp_iflag_f32_e32 v1, v1
	s_nop 0
	v_mul_f32_e32 v1, 0x4f7ffffe, v1
	v_cvt_u32_f32_e32 v1, v1
	s_nop 0
	v_readfirstlane_b32 s5, v1
	s_mul_i32 s4, s4, s5
	s_mul_hi_u32 s4, s5, s4
	s_add_i32 s5, s5, s4
	s_mul_hi_u32 s4, s2, s5
	s_mul_i32 s6, s4, s24
	s_sub_i32 s6, s2, s6
	s_add_i32 s5, s4, 1
	s_sub_i32 s7, s6, s24
	s_cmp_ge_u32 s6, s24
	s_cselect_b32 s4, s5, s4
	s_cselect_b32 s6, s7, s6
	s_add_i32 s5, s4, 1
	s_cmp_ge_u32 s6, s24
	s_cselect_b32 s26, s5, s4
.LBB0_2:
	s_load_dwordx2 s[16:17], s[0:1], 0x58
	s_load_dwordx4 s[4:7], s[14:15], 0x0
	s_load_dwordx2 s[18:19], s[0:1], 0x0
	s_load_dwordx4 s[8:11], s[0:1], 0x8
	s_mul_i32 s0, s26, s25
	s_mul_hi_u32 s1, s26, s24
	s_add_i32 s1, s1, s0
	s_mul_i32 s0, s26, s24
	s_sub_u32 s0, s2, s0
	s_subb_u32 s1, 0, s1
	s_mul_i32 s1, s1, 7
	s_mul_hi_u32 s22, s0, 7
	s_add_i32 s23, s22, s1
	s_mul_i32 s22, s0, 7
	s_waitcnt lgkmcnt(0)
	s_mul_i32 s0, s6, s23
	s_mul_hi_u32 s1, s6, s22
	s_add_i32 s0, s1, s0
	s_mul_i32 s1, s7, s22
	s_add_i32 s33, s0, s1
	v_cmp_lt_u64_e64 s[0:1], s[10:11], 3
	s_mul_i32 s40, s6, s22
	s_and_b64 vcc, exec, s[0:1]
	s_cbranch_vccnz .LBB0_12
; %bb.3:
	s_add_u32 s28, s14, 16
	s_addc_u32 s29, s15, 0
	s_add_u32 s12, s12, 16
	s_addc_u32 s13, s13, 0
	s_mov_b64 s[30:31], 2
	s_mov_b32 s34, 0
	v_mov_b64_e32 v[2:3], s[10:11]
.LBB0_4:                                ; =>This Inner Loop Header: Depth=1
	s_load_dwordx2 s[36:37], s[12:13], 0x0
	s_waitcnt lgkmcnt(0)
	s_or_b64 s[0:1], s[26:27], s[36:37]
	s_mov_b32 s35, s1
	s_cmp_lg_u64 s[34:35], 0
	s_cbranch_scc0 .LBB0_9
; %bb.5:                                ;   in Loop: Header=BB0_4 Depth=1
	v_cvt_f32_u32_e32 v1, s36
	v_cvt_f32_u32_e32 v4, s37
	s_sub_u32 s0, 0, s36
	s_subb_u32 s1, 0, s37
	v_fmac_f32_e32 v1, 0x4f800000, v4
	v_rcp_f32_e32 v1, v1
	s_nop 0
	v_mul_f32_e32 v1, 0x5f7ffffc, v1
	v_mul_f32_e32 v4, 0x2f800000, v1
	v_trunc_f32_e32 v4, v4
	v_fmac_f32_e32 v1, 0xcf800000, v4
	v_cvt_u32_f32_e32 v4, v4
	v_cvt_u32_f32_e32 v1, v1
	v_readfirstlane_b32 s35, v4
	v_readfirstlane_b32 s38, v1
	s_mul_i32 s39, s0, s35
	s_mul_hi_u32 s42, s0, s38
	s_mul_i32 s41, s1, s38
	s_add_i32 s39, s42, s39
	s_mul_i32 s43, s0, s38
	s_add_i32 s39, s39, s41
	s_mul_hi_u32 s41, s38, s39
	s_mul_i32 s42, s38, s39
	s_mul_hi_u32 s38, s38, s43
	s_add_u32 s38, s38, s42
	s_addc_u32 s41, 0, s41
	s_mul_hi_u32 s44, s35, s43
	s_mul_i32 s43, s35, s43
	s_add_u32 s38, s38, s43
	s_mul_hi_u32 s42, s35, s39
	s_addc_u32 s38, s41, s44
	s_addc_u32 s41, s42, 0
	s_mul_i32 s39, s35, s39
	s_add_u32 s38, s38, s39
	s_addc_u32 s39, 0, s41
	v_add_co_u32_e32 v1, vcc, s38, v1
	s_cmp_lg_u64 vcc, 0
	s_addc_u32 s35, s35, s39
	v_readfirstlane_b32 s39, v1
	s_mul_i32 s38, s0, s35
	s_mul_hi_u32 s41, s0, s39
	s_add_i32 s38, s41, s38
	s_mul_i32 s1, s1, s39
	s_add_i32 s38, s38, s1
	s_mul_i32 s0, s0, s39
	s_mul_hi_u32 s41, s35, s0
	s_mul_i32 s42, s35, s0
	s_mul_i32 s44, s39, s38
	s_mul_hi_u32 s0, s39, s0
	s_mul_hi_u32 s43, s39, s38
	s_add_u32 s0, s0, s44
	s_addc_u32 s39, 0, s43
	s_add_u32 s0, s0, s42
	s_mul_hi_u32 s1, s35, s38
	s_addc_u32 s0, s39, s41
	s_addc_u32 s1, s1, 0
	s_mul_i32 s38, s35, s38
	s_add_u32 s0, s0, s38
	s_addc_u32 s1, 0, s1
	v_add_co_u32_e32 v1, vcc, s0, v1
	s_cmp_lg_u64 vcc, 0
	s_addc_u32 s0, s35, s1
	v_readfirstlane_b32 s38, v1
	s_mul_i32 s35, s26, s0
	s_mul_hi_u32 s39, s26, s38
	s_mul_hi_u32 s1, s26, s0
	s_add_u32 s35, s39, s35
	s_addc_u32 s1, 0, s1
	s_mul_hi_u32 s41, s27, s38
	s_mul_i32 s38, s27, s38
	s_add_u32 s35, s35, s38
	s_mul_hi_u32 s39, s27, s0
	s_addc_u32 s1, s1, s41
	s_addc_u32 s35, s39, 0
	s_mul_i32 s0, s27, s0
	s_add_u32 s38, s1, s0
	s_addc_u32 s35, 0, s35
	s_mul_i32 s0, s36, s35
	s_mul_hi_u32 s1, s36, s38
	s_add_i32 s0, s1, s0
	s_mul_i32 s1, s37, s38
	s_add_i32 s39, s0, s1
	s_mul_i32 s1, s36, s38
	v_mov_b32_e32 v1, s1
	s_sub_i32 s0, s27, s39
	v_sub_co_u32_e32 v1, vcc, s26, v1
	s_cmp_lg_u64 vcc, 0
	s_subb_u32 s41, s0, s37
	v_subrev_co_u32_e64 v4, s[0:1], s36, v1
	s_cmp_lg_u64 s[0:1], 0
	s_subb_u32 s0, s41, 0
	s_cmp_ge_u32 s0, s37
	v_readfirstlane_b32 s41, v4
	s_cselect_b32 s1, -1, 0
	s_cmp_ge_u32 s41, s36
	s_cselect_b32 s41, -1, 0
	s_cmp_eq_u32 s0, s37
	s_cselect_b32 s0, s41, s1
	s_add_u32 s1, s38, 1
	s_addc_u32 s41, s35, 0
	s_add_u32 s42, s38, 2
	s_addc_u32 s43, s35, 0
	s_cmp_lg_u32 s0, 0
	s_cselect_b32 s0, s42, s1
	s_cselect_b32 s1, s43, s41
	s_cmp_lg_u64 vcc, 0
	s_subb_u32 s39, s27, s39
	s_cmp_ge_u32 s39, s37
	v_readfirstlane_b32 s42, v1
	s_cselect_b32 s41, -1, 0
	s_cmp_ge_u32 s42, s36
	s_cselect_b32 s42, -1, 0
	s_cmp_eq_u32 s39, s37
	s_cselect_b32 s39, s42, s41
	s_cmp_lg_u32 s39, 0
	s_cselect_b32 s1, s1, s35
	s_cselect_b32 s0, s0, s38
	s_cbranch_execnz .LBB0_7
.LBB0_6:                                ;   in Loop: Header=BB0_4 Depth=1
	v_cvt_f32_u32_e32 v1, s36
	s_sub_i32 s0, 0, s36
	v_rcp_iflag_f32_e32 v1, v1
	s_nop 0
	v_mul_f32_e32 v1, 0x4f7ffffe, v1
	v_cvt_u32_f32_e32 v1, v1
	s_nop 0
	v_readfirstlane_b32 s1, v1
	s_mul_i32 s0, s0, s1
	s_mul_hi_u32 s0, s1, s0
	s_add_i32 s1, s1, s0
	s_mul_hi_u32 s0, s26, s1
	s_mul_i32 s35, s0, s36
	s_sub_i32 s35, s26, s35
	s_add_i32 s1, s0, 1
	s_sub_i32 s38, s35, s36
	s_cmp_ge_u32 s35, s36
	s_cselect_b32 s0, s1, s0
	s_cselect_b32 s35, s38, s35
	s_add_i32 s1, s0, 1
	s_cmp_ge_u32 s35, s36
	s_cselect_b32 s0, s1, s0
	s_mov_b32 s1, s34
.LBB0_7:                                ;   in Loop: Header=BB0_4 Depth=1
	s_mul_i32 s25, s36, s25
	s_mul_hi_u32 s35, s36, s24
	s_add_i32 s25, s35, s25
	s_mul_i32 s35, s37, s24
	s_add_i32 s25, s25, s35
	s_mul_i32 s35, s0, s37
	s_mul_hi_u32 s37, s0, s36
	s_load_dwordx2 s[38:39], s[28:29], 0x0
	s_add_i32 s35, s37, s35
	s_mul_i32 s37, s1, s36
	s_mul_i32 s24, s36, s24
	s_add_i32 s35, s35, s37
	s_mul_i32 s36, s0, s36
	s_sub_u32 s26, s26, s36
	s_subb_u32 s27, s27, s35
	s_waitcnt lgkmcnt(0)
	s_mul_i32 s27, s38, s27
	s_mul_hi_u32 s35, s38, s26
	s_add_i32 s27, s35, s27
	s_mul_i32 s35, s39, s26
	s_add_i32 s27, s27, s35
	s_mul_i32 s26, s38, s26
	s_add_u32 s40, s26, s40
	s_addc_u32 s33, s27, s33
	s_add_u32 s30, s30, 1
	s_addc_u32 s31, s31, 0
	;; [unrolled: 2-line block ×3, first 2 shown]
	s_add_u32 s12, s12, 8
	v_cmp_ge_u64_e32 vcc, s[30:31], v[2:3]
	s_addc_u32 s13, s13, 0
	s_cbranch_vccnz .LBB0_10
; %bb.8:                                ;   in Loop: Header=BB0_4 Depth=1
	s_mov_b64 s[26:27], s[0:1]
	s_branch .LBB0_4
.LBB0_9:                                ;   in Loop: Header=BB0_4 Depth=1
                                        ; implicit-def: $sgpr0_sgpr1
	s_branch .LBB0_6
.LBB0_10:
	v_mov_b64_e32 v[2:3], s[24:25]
	v_cmp_lt_u64_e32 vcc, s[2:3], v[2:3]
	s_mov_b64 s[26:27], 0
	s_cbranch_vccnz .LBB0_12
; %bb.11:
	v_cvt_f32_u32_e32 v1, s24
	s_sub_i32 s0, 0, s24
	v_rcp_iflag_f32_e32 v1, v1
	s_nop 0
	v_mul_f32_e32 v1, 0x4f7ffffe, v1
	v_cvt_u32_f32_e32 v1, v1
	s_nop 0
	v_readfirstlane_b32 s1, v1
	s_mul_i32 s0, s0, s1
	s_mul_hi_u32 s0, s1, s0
	s_add_i32 s1, s1, s0
	s_mul_hi_u32 s0, s2, s1
	s_mul_i32 s3, s0, s24
	s_sub_i32 s2, s2, s3
	s_add_i32 s1, s0, 1
	s_sub_i32 s3, s2, s24
	s_cmp_ge_u32 s2, s24
	s_cselect_b32 s0, s1, s0
	s_cselect_b32 s2, s3, s2
	s_add_i32 s1, s0, 1
	s_cmp_ge_u32 s2, s24
	s_cselect_b32 s26, s1, s0
.LBB0_12:
	s_lshl_b64 s[0:1], s[10:11], 3
	s_add_u32 s0, s14, s0
	s_addc_u32 s1, s15, s1
	s_load_dwordx2 s[0:1], s[0:1], 0x0
	v_mul_u32_u24_e32 v1, 0x2493, v0
	v_mov_b64_e32 v[2:3], s[20:21]
	v_lshrrev_b32_e32 v48, 16, v1
	v_mul_lo_u16_e32 v1, 7, v48
	s_waitcnt lgkmcnt(0)
	s_mul_i32 s1, s1, s26
	s_mul_hi_u32 s2, s0, s26
	s_mul_i32 s0, s0, s26
	s_add_i32 s1, s2, s1
	s_add_u32 s2, s0, s40
	s_addc_u32 s3, s1, s33
	s_add_u32 s0, s22, 7
	s_addc_u32 s1, s23, 0
	v_cmp_le_u64_e32 vcc, s[0:1], v[2:3]
	s_mov_b32 s0, 0
	v_sub_u16_e32 v12, v0, v1
	v_mov_b32_e32 v13, s0
	v_lshl_add_u64 v[2:3], s[22:23], 0, v[12:13]
	v_cmp_gt_u64_e64 s[0:1], s[20:21], v[2:3]
	s_or_b64 s[0:1], vcc, s[0:1]
	v_lshlrev_b32_e32 v49, 3, v48
	v_add_u32_e32 v13, 56, v48
	s_and_saveexec_b64 s[10:11], s[0:1]
	s_cbranch_execz .LBB0_14
; %bb.13:
	v_mad_u64_u32 v[2:3], s[12:13], s6, v12, 0
	v_mov_b32_e32 v4, v3
	v_mad_u64_u32 v[4:5], s[12:13], s7, v12, v[4:5]
	v_mov_b32_e32 v3, v4
	;; [unrolled: 2-line block ×3, first 2 shown]
	v_mad_u64_u32 v[6:7], s[12:13], s5, v48, v[6:7]
	s_lshl_b64 s[12:13], s[2:3], 3
	s_add_u32 s12, s16, s12
	s_addc_u32 s13, s17, s13
	v_mov_b32_e32 v5, v6
	v_lshl_add_u64 v[2:3], v[2:3], 3, s[12:13]
	v_mad_u64_u32 v[6:7], s[12:13], s4, v13, 0
	v_mov_b32_e32 v8, v7
	v_mad_u64_u32 v[8:9], s[12:13], s5, v13, v[8:9]
	v_add_u32_e32 v1, 0x70, v48
	v_mov_b32_e32 v7, v8
	v_mad_u64_u32 v[8:9], s[12:13], s4, v1, 0
	v_mov_b32_e32 v10, v9
	v_mad_u64_u32 v[10:11], s[12:13], s5, v1, v[10:11]
	v_add_u32_e32 v1, 0xa8, v48
	v_mov_b32_e32 v9, v10
	v_mad_u64_u32 v[10:11], s[12:13], s4, v1, 0
	v_mov_b32_e32 v14, v11
	v_mad_u64_u32 v[14:15], s[12:13], s5, v1, v[14:15]
	v_lshl_add_u64 v[4:5], v[4:5], 3, v[2:3]
	v_mov_b32_e32 v11, v14
	v_add_u32_e32 v1, 0xe0, v48
	v_lshl_add_u64 v[6:7], v[6:7], 3, v[2:3]
	v_lshl_add_u64 v[8:9], v[8:9], 3, v[2:3]
	;; [unrolled: 1-line block ×3, first 2 shown]
	global_load_dwordx2 v[14:15], v[4:5], off
	global_load_dwordx2 v[16:17], v[6:7], off
	;; [unrolled: 1-line block ×4, first 2 shown]
	v_mad_u64_u32 v[4:5], s[12:13], s4, v1, 0
	v_mov_b32_e32 v6, v5
	v_mad_u64_u32 v[6:7], s[12:13], s5, v1, v[6:7]
	v_mov_b32_e32 v5, v6
	v_lshl_add_u64 v[2:3], v[4:5], 3, v[2:3]
	global_load_dwordx2 v[2:3], v[2:3], off
	v_mul_u32_u24_e32 v1, 0x8c0, v12
	v_add3_u32 v1, 0, v1, v49
	s_waitcnt vmcnt(3)
	ds_write2_b64 v1, v[14:15], v[16:17] offset1:56
	s_waitcnt vmcnt(1)
	ds_write2_b64 v1, v[18:19], v[20:21] offset0:112 offset1:168
	s_waitcnt vmcnt(0)
	ds_write_b64 v1, v[2:3] offset:1792
.LBB0_14:
	s_or_b64 exec, exec, s[10:11]
	s_movk_i32 s10, 0x493
	v_mul_u32_u24_sdwa v1, v0, s10 dst_sel:DWORD dst_unused:UNUSED_PAD src0_sel:WORD_0 src1_sel:DWORD
	s_add_u32 s10, 0, 0x92481000
	s_addc_u32 s11, 0, 0x64
	s_add_i32 s11, s11, 0x249248c0
	s_mul_hi_u32 s15, s10, -7
	s_sub_i32 s15, s15, s10
	s_mul_i32 s20, s11, -7
	s_mul_i32 s12, s10, -7
	s_add_i32 s15, s15, s20
	s_mul_hi_u32 s13, s11, s12
	s_mul_i32 s14, s11, s12
	s_mul_i32 s21, s10, s15
	s_mul_hi_u32 s12, s10, s12
	s_mul_hi_u32 s20, s10, s15
	s_add_u32 s12, s12, s21
	s_addc_u32 s20, 0, s20
	s_add_u32 s12, s12, s14
	s_mul_hi_u32 s21, s11, s15
	s_addc_u32 s12, s20, s13
	s_addc_u32 s13, s21, 0
	s_mul_i32 s14, s11, s15
	s_add_u32 s12, s12, s14
	v_lshrrev_b32_e32 v2, 16, v1
	v_mov_b32_e32 v1, s12
	s_addc_u32 s13, 0, s13
	v_add_co_u32_e32 v1, vcc, s10, v1
	v_mov_b32_e32 v3, 0
	s_cmp_lg_u64 vcc, 0
	v_lshl_add_u64 v[18:19], s[22:23], 0, v[2:3]
	s_addc_u32 s12, s11, s13
	v_mad_u64_u32 v[4:5], s[10:11], v18, s12, 0
	v_mul_hi_u32 v6, v18, v1
	v_mov_b32_e32 v7, v3
	v_lshl_add_u64 v[4:5], v[6:7], 0, v[4:5]
	v_mad_u64_u32 v[8:9], s[10:11], v19, v1, 0
	v_add_co_u32_e32 v1, vcc, v4, v8
	v_mad_u64_u32 v[6:7], s[10:11], v19, s12, 0
	s_nop 0
	v_addc_co_u32_e32 v4, vcc, v5, v9, vcc
	v_mov_b32_e32 v5, v3
	s_nop 0
	v_addc_co_u32_e32 v7, vcc, 0, v7, vcc
	v_lshl_add_u64 v[4:5], v[4:5], 0, v[6:7]
	v_mad_u64_u32 v[6:7], s[10:11], v4, 7, 0
	v_mov_b32_e32 v4, v7
	v_mad_u64_u32 v[4:5], s[10:11], v5, 7, v[4:5]
	v_sub_co_u32_e32 v1, vcc, v18, v6
	v_mul_lo_u16_e32 v2, 56, v2
	s_nop 0
	v_subb_co_u32_e32 v3, vcc, v19, v4, vcc
	v_subrev_co_u32_e32 v4, vcc, 7, v1
	v_sub_u16_e32 v19, v0, v2
	s_nop 0
	v_subbrev_co_u32_e32 v5, vcc, 0, v3, vcc
	v_cmp_lt_u32_e32 vcc, 6, v4
	v_lshlrev_b32_e32 v0, 3, v19
	v_add_u32_e32 v27, 0, v0
	v_cndmask_b32_e64 v6, 0, -1, vcc
	v_cmp_eq_u32_e32 vcc, 0, v5
	s_waitcnt lgkmcnt(0)
	s_barrier
	v_cndmask_b32_e32 v5, -1, v6, vcc
	v_add_u32_e32 v6, -7, v4
	v_cmp_ne_u32_e32 vcc, 0, v5
	s_mov_b32 s12, 0x3f3504f3
	s_nop 0
	v_cndmask_b32_e32 v4, v4, v6, vcc
	v_cmp_lt_u32_e32 vcc, 6, v1
	s_nop 1
	v_cndmask_b32_e64 v5, 0, -1, vcc
	v_cmp_eq_u32_e32 vcc, 0, v3
	s_nop 1
	v_cndmask_b32_e32 v3, -1, v5, vcc
	v_cmp_ne_u32_e32 vcc, 0, v3
	s_nop 1
	v_cndmask_b32_e32 v1, v1, v4, vcc
	v_mul_u32_u24_e32 v1, 0x118, v1
	v_lshlrev_b32_e32 v26, 3, v1
	v_add_u32_e32 v50, v27, v26
	v_add3_u32 v51, 0, v26, v0
	ds_read2_b64 v[0:3], v50 offset0:35 offset1:70
	ds_read2_b64 v[6:9], v50 offset0:105 offset1:140
	ds_read_b64 v[20:21], v51
	ds_read2_b64 v[14:17], v50 offset0:175 offset1:210
	ds_read_b64 v[4:5], v50 offset:1960
	v_cmp_gt_u16_e32 vcc, 35, v19
	s_waitcnt lgkmcnt(0)
	v_pk_add_f32 v[8:9], v[20:21], v[8:9] neg_lo:[0,1] neg_hi:[0,1]
	v_pk_add_f32 v[14:15], v[0:1], v[14:15] neg_lo:[0,1] neg_hi:[0,1]
	;; [unrolled: 1-line block ×4, first 2 shown]
	v_pk_fma_f32 v[22:23], v[0:1], 2.0, v[14:15] op_sel_hi:[1,0,1] neg_lo:[0,0,1] neg_hi:[0,0,1]
	v_pk_fma_f32 v[0:1], v[6:7], 2.0, v[28:29] op_sel_hi:[1,0,1] neg_lo:[0,0,1] neg_hi:[0,0,1]
	v_pk_add_f32 v[4:5], v[8:9], v[16:17] op_sel:[0,1] op_sel_hi:[1,0]
	v_pk_add_f32 v[10:11], v[8:9], v[16:17] op_sel:[0,1] op_sel_hi:[1,0] neg_lo:[0,1] neg_hi:[0,1]
	v_pk_add_f32 v[24:25], v[22:23], v[0:1] neg_lo:[0,1] neg_hi:[0,1]
	v_pk_add_f32 v[6:7], v[14:15], v[28:29] op_sel:[0,1] op_sel_hi:[1,0]
	v_pk_add_f32 v[0:1], v[14:15], v[28:29] op_sel:[0,1] op_sel_hi:[1,0] neg_lo:[0,1] neg_hi:[0,1]
	v_mov_b32_e32 v5, v11
	v_mov_b32_e32 v7, v1
	v_pk_fma_f32 v[10:11], v[8:9], 2.0, v[4:5] op_sel_hi:[1,0,1] neg_lo:[0,0,1] neg_hi:[0,0,1]
	v_pk_fma_f32 v[20:21], v[20:21], 2.0, v[8:9] op_sel_hi:[1,0,1] neg_lo:[0,0,1] neg_hi:[0,0,1]
	;; [unrolled: 1-line block ×4, first 2 shown]
	v_pk_add_f32 v[8:9], v[20:21], v[2:3] neg_lo:[0,1] neg_hi:[0,1]
	v_pk_mul_f32 v[2:3], v[0:1], s[12:13] op_sel_hi:[1,0]
	v_pk_fma_f32 v[0:1], v[0:1], s[12:13], v[10:11] op_sel_hi:[1,0,1] neg_lo:[1,0,0] neg_hi:[1,0,0]
	v_pk_add_f32 v[16:17], v[8:9], v[24:25] op_sel:[0,1] op_sel_hi:[1,0]
	v_pk_add_f32 v[14:15], v[0:1], v[2:3] op_sel:[0,1] op_sel_hi:[1,0]
	v_pk_add_f32 v[0:1], v[0:1], v[2:3] op_sel:[0,1] op_sel_hi:[1,0] neg_lo:[0,1] neg_hi:[0,1]
	v_pk_add_f32 v[2:3], v[8:9], v[24:25] op_sel:[0,1] op_sel_hi:[1,0] neg_lo:[0,1] neg_hi:[0,1]
	s_barrier
	s_and_saveexec_b64 s[10:11], vcc
	s_cbranch_execz .LBB0_16
; %bb.15:
	v_pk_fma_f32 v[20:21], v[20:21], 2.0, v[8:9] op_sel_hi:[1,0,1] neg_lo:[0,0,1] neg_hi:[0,0,1]
	v_pk_fma_f32 v[22:23], v[22:23], 2.0, v[24:25] op_sel_hi:[1,0,1] neg_lo:[0,0,1] neg_hi:[0,0,1]
	v_mov_b32_e32 v15, v1
	v_mul_u32_u24_e32 v0, 56, v19
	v_pk_add_f32 v[22:23], v[20:21], v[22:23] neg_lo:[0,1] neg_hi:[0,1]
	v_add3_u32 v0, v27, v0, v26
	v_pk_fma_f32 v[20:21], v[20:21], 2.0, v[22:23] op_sel_hi:[1,0,1] neg_lo:[0,0,1] neg_hi:[0,0,1]
	v_pk_fma_f32 v[10:11], v[10:11], 2.0, v[14:15] op_sel_hi:[1,0,1] neg_lo:[0,0,1] neg_hi:[0,0,1]
	ds_write2_b64 v0, v[20:21], v[10:11] offset1:1
	v_pk_mul_f32 v[10:11], v[6:7], s[12:13] op_sel_hi:[1,0]
	v_pk_fma_f32 v[6:7], v[6:7], s[12:13], v[4:5] op_sel_hi:[1,0,1]
	v_mov_b32_e32 v17, v3
	v_pk_add_f32 v[20:21], v[6:7], v[10:11] op_sel:[0,1] op_sel_hi:[1,0]
	v_pk_add_f32 v[6:7], v[6:7], v[10:11] op_sel:[0,1] op_sel_hi:[1,0] neg_lo:[0,1] neg_hi:[0,1]
	v_pk_fma_f32 v[8:9], v[8:9], 2.0, v[16:17] op_sel_hi:[1,0,1] neg_lo:[0,0,1] neg_hi:[0,0,1]
	v_mov_b32_e32 v21, v7
	v_pk_fma_f32 v[4:5], v[4:5], 2.0, v[20:21] op_sel_hi:[1,0,1] neg_lo:[0,0,1] neg_hi:[0,0,1]
	ds_write2_b64 v0, v[8:9], v[4:5] offset0:2 offset1:3
	ds_write2_b64 v0, v[22:23], v[14:15] offset0:4 offset1:5
	;; [unrolled: 1-line block ×3, first 2 shown]
.LBB0_16:
	s_or_b64 exec, exec, s[10:11]
	v_and_b32_e32 v0, 7, v19
	v_lshlrev_b32_e32 v2, 5, v0
	s_waitcnt lgkmcnt(0)
	s_barrier
	global_load_dwordx4 v[4:7], v2, s[18:19]
	global_load_dwordx4 v[8:11], v2, s[18:19] offset:16
	ds_read2_b32 v[24:25], v51 offset1:1
	ds_read2_b64 v[20:23], v50 offset0:56 offset1:112
	ds_read2_b64 v[28:31], v50 offset0:168 offset1:224
	v_lshrrev_b32_e32 v2, 3, v19
	v_mul_u32_u24_e32 v2, 40, v2
	v_or_b32_e32 v0, v2, v0
	v_lshlrev_b32_e32 v0, 3, v0
	v_add3_u32 v0, 0, v0, v26
	s_mov_b32 s10, 0x3f737871
	s_mov_b32 s12, 0x3f167918
	;; [unrolled: 1-line block ×3, first 2 shown]
	v_cmp_gt_u16_e32 vcc, 40, v19
	s_waitcnt lgkmcnt(0)
	s_barrier
	s_waitcnt vmcnt(1)
	v_pk_mul_f32 v[26:27], v[4:5], v[20:21] op_sel:[0,1]
	v_pk_mul_f32 v[32:33], v[6:7], v[22:23] op_sel:[0,1]
	s_waitcnt vmcnt(0)
	v_pk_mul_f32 v[34:35], v[8:9], v[28:29] op_sel:[0,1]
	v_pk_mul_f32 v[36:37], v[10:11], v[30:31] op_sel:[0,1]
	v_pk_fma_f32 v[38:39], v[4:5], v[20:21], v[26:27] op_sel:[0,0,1] op_sel_hi:[1,1,0]
	v_pk_fma_f32 v[4:5], v[4:5], v[20:21], v[26:27] op_sel:[0,0,1] op_sel_hi:[1,0,0] neg_lo:[1,0,0] neg_hi:[1,0,0]
	v_pk_fma_f32 v[20:21], v[6:7], v[22:23], v[32:33] op_sel:[0,0,1] op_sel_hi:[1,1,0]
	v_pk_fma_f32 v[6:7], v[6:7], v[22:23], v[32:33] op_sel:[0,0,1] op_sel_hi:[1,0,0] neg_lo:[1,0,0] neg_hi:[1,0,0]
	v_pk_fma_f32 v[22:23], v[8:9], v[28:29], v[34:35] op_sel:[0,0,1] op_sel_hi:[1,1,0]
	v_pk_fma_f32 v[8:9], v[8:9], v[28:29], v[34:35] op_sel:[0,0,1] op_sel_hi:[1,0,0] neg_lo:[1,0,0] neg_hi:[1,0,0]
	v_pk_fma_f32 v[26:27], v[10:11], v[30:31], v[36:37] op_sel:[0,0,1] op_sel_hi:[1,1,0]
	v_pk_fma_f32 v[10:11], v[10:11], v[30:31], v[36:37] op_sel:[0,0,1] op_sel_hi:[1,0,0] neg_lo:[1,0,0] neg_hi:[1,0,0]
	v_mov_b32_e32 v39, v5
	v_mov_b32_e32 v21, v7
	;; [unrolled: 1-line block ×4, first 2 shown]
	v_pk_add_f32 v[4:5], v[38:39], v[24:25]
	v_pk_add_f32 v[6:7], v[20:21], v[22:23]
	v_pk_add_f32 v[8:9], v[38:39], v[26:27] neg_lo:[0,1] neg_hi:[0,1]
	v_pk_add_f32 v[10:11], v[20:21], v[22:23] neg_lo:[0,1] neg_hi:[0,1]
	v_pk_add_f32 v[32:33], v[38:39], v[26:27]
	v_pk_add_f32 v[28:29], v[38:39], v[20:21] neg_lo:[0,1] neg_hi:[0,1]
	v_pk_add_f32 v[34:35], v[20:21], v[38:39] neg_lo:[0,1] neg_hi:[0,1]
	v_pk_add_f32 v[4:5], v[4:5], v[20:21]
	v_pk_fma_f32 v[6:7], v[6:7], 0.5, v[24:25] op_sel_hi:[1,0,1] neg_lo:[1,0,0] neg_hi:[1,0,0]
	v_pk_mul_f32 v[20:21], v[8:9], s[10:11] op_sel_hi:[1,0]
	v_pk_mul_f32 v[38:39], v[10:11], s[12:13] op_sel_hi:[1,0]
	v_pk_fma_f32 v[24:25], v[32:33], 0.5, v[24:25] op_sel_hi:[1,0,1] neg_lo:[1,0,0] neg_hi:[1,0,0]
	v_pk_mul_f32 v[10:11], v[10:11], s[10:11] op_sel_hi:[1,0]
	v_pk_add_f32 v[30:31], v[26:27], v[22:23] neg_lo:[0,1] neg_hi:[0,1]
	v_pk_add_f32 v[36:37], v[22:23], v[26:27] neg_lo:[0,1] neg_hi:[0,1]
	v_pk_mul_f32 v[8:9], v[8:9], s[12:13] op_sel_hi:[1,0]
	v_pk_add_f32 v[4:5], v[4:5], v[22:23]
	v_pk_add_f32 v[22:23], v[6:7], v[20:21] op_sel:[0,1] op_sel_hi:[1,0] neg_lo:[0,1] neg_hi:[0,1]
	v_pk_add_f32 v[6:7], v[6:7], v[20:21] op_sel:[0,1] op_sel_hi:[1,0]
	v_pk_add_f32 v[32:33], v[24:25], v[10:11] op_sel:[0,1] op_sel_hi:[1,0]
	v_pk_add_f32 v[10:11], v[24:25], v[10:11] op_sel:[0,1] op_sel_hi:[1,0] neg_lo:[0,1] neg_hi:[0,1]
	v_pk_add_f32 v[20:21], v[4:5], v[26:27]
	v_pk_add_f32 v[22:23], v[22:23], v[38:39] op_sel:[0,1] op_sel_hi:[1,0] neg_lo:[0,1] neg_hi:[0,1]
	v_pk_add_f32 v[4:5], v[6:7], v[38:39] op_sel:[0,1] op_sel_hi:[1,0]
	v_pk_add_f32 v[24:25], v[32:33], v[8:9] op_sel:[0,1] op_sel_hi:[1,0] neg_lo:[0,1] neg_hi:[0,1]
	v_pk_add_f32 v[6:7], v[10:11], v[8:9] op_sel:[0,1] op_sel_hi:[1,0]
	v_pk_add_f32 v[28:29], v[28:29], v[30:31]
	v_pk_add_f32 v[30:31], v[34:35], v[36:37]
	v_mov_b32_e32 v8, v4
	v_mov_b32_e32 v9, v23
	;; [unrolled: 1-line block ×6, first 2 shown]
	v_pk_fma_f32 v[6:7], v[28:29], s[14:15], v[8:9] op_sel_hi:[1,0,1]
	v_pk_fma_f32 v[4:5], v[30:31], s[14:15], v[10:11] op_sel_hi:[1,0,1]
	;; [unrolled: 1-line block ×4, first 2 shown]
	ds_write2_b64 v0, v[20:21], v[8:9] offset1:8
	ds_write2_b64 v0, v[10:11], v[4:5] offset0:16 offset1:24
	ds_write_b64 v0, v[6:7] offset:256
	s_waitcnt lgkmcnt(0)
	s_barrier
	s_and_saveexec_b64 s[10:11], vcc
	s_cbranch_execz .LBB0_18
; %bb.17:
	ds_read_b64 v[20:21], v51
	ds_read2_b64 v[0:3], v50 offset0:200 offset1:240
	ds_read2_b64 v[8:11], v50 offset0:40 offset1:80
	;; [unrolled: 1-line block ×3, first 2 shown]
	s_waitcnt lgkmcnt(2)
	v_mov_b32_e32 v16, v2
	v_mov_b32_e32 v14, v0
.LBB0_18:
	s_or_b64 exec, exec, s[10:11]
	v_subrev_u32_e32 v0, 40, v19
	v_cndmask_b32_e32 v0, v0, v19, vcc
	v_mul_lo_u32 v2, v18, v0
	v_mov_b32_e32 v15, 3
	v_add_u32_e32 v19, 40, v0
	v_lshlrev_b32_sdwa v17, v15, v2 dst_sel:DWORD dst_unused:UNUSED_PAD src0_sel:DWORD src1_sel:BYTE_0
	v_lshlrev_b32_sdwa v2, v15, v2 dst_sel:DWORD dst_unused:UNUSED_PAD src0_sel:DWORD src1_sel:BYTE_1
	v_mul_lo_u32 v19, v18, v19
	v_lshlrev_b32_sdwa v28, v15, v19 dst_sel:DWORD dst_unused:UNUSED_PAD src0_sel:DWORD src1_sel:BYTE_0
	v_lshlrev_b32_sdwa v19, v15, v19 dst_sel:DWORD dst_unused:UNUSED_PAD src0_sel:DWORD src1_sel:BYTE_1
	global_load_dwordx2 v[22:23], v17, s[8:9]
	global_load_dwordx2 v[24:25], v2, s[8:9] offset:2048
	global_load_dwordx2 v[26:27], v28, s[8:9]
	global_load_dwordx2 v[30:31], v19, s[8:9] offset:2048
	v_add_u32_e32 v2, 0x50, v0
	v_mul_lo_u32 v2, v18, v2
	v_add_u32_e32 v19, 0x78, v0
	v_lshlrev_b32_sdwa v17, v15, v2 dst_sel:DWORD dst_unused:UNUSED_PAD src0_sel:DWORD src1_sel:BYTE_0
	v_lshlrev_b32_sdwa v2, v15, v2 dst_sel:DWORD dst_unused:UNUSED_PAD src0_sel:DWORD src1_sel:BYTE_1
	v_mul_lo_u32 v19, v18, v19
	v_lshlrev_b32_sdwa v38, v15, v19 dst_sel:DWORD dst_unused:UNUSED_PAD src0_sel:DWORD src1_sel:BYTE_0
	v_lshlrev_b32_sdwa v19, v15, v19 dst_sel:DWORD dst_unused:UNUSED_PAD src0_sel:DWORD src1_sel:BYTE_1
	global_load_dwordx2 v[34:35], v17, s[8:9]
	global_load_dwordx2 v[36:37], v2, s[8:9] offset:2048
	global_load_dwordx2 v[28:29], v38, s[8:9]
	global_load_dwordx2 v[32:33], v19, s[8:9] offset:2048
	v_add_u32_e32 v2, 0xa0, v0
	v_mul_lo_u32 v2, v18, v2
	;; [unrolled: 12-line block ×3, first 2 shown]
	v_lshlrev_b32_sdwa v17, v15, v2 dst_sel:DWORD dst_unused:UNUSED_PAD src0_sel:DWORD src1_sel:BYTE_0
	v_lshlrev_b32_sdwa v2, v15, v2 dst_sel:DWORD dst_unused:UNUSED_PAD src0_sel:DWORD src1_sel:BYTE_1
	global_load_dwordx2 v[18:19], v17, s[8:9]
	global_load_dwordx2 v[42:43], v2, s[8:9] offset:2048
	s_waitcnt lgkmcnt(0)
	s_barrier
	s_and_saveexec_b64 s[8:9], vcc
	s_cbranch_execz .LBB0_20
; %bb.19:
	v_mul_i32_i24_e32 v52, 6, v0
	v_mov_b32_e32 v53, 0
	v_lshl_add_u64 v[56:57], v[52:53], 3, s[18:19]
	global_load_dwordx4 v[52:55], v[56:57], off offset:288
	v_mov_b32_e32 v0, v3
	v_mov_b32_e32 v2, v3
	v_mov_b32_e32 v58, v1
	v_mov_b32_e32 v60, v1
	s_mov_b32 s14, 0xbf5ff5aa
	s_mov_b32 s18, 0xbf955555
	;; [unrolled: 1-line block ×6, first 2 shown]
	s_waitcnt vmcnt(0)
	v_pk_mul_f32 v[16:17], v[16:17], v[54:55] op_sel_hi:[0,1]
	v_pk_fma_f32 v[62:63], v[0:1], v[54:55], v[16:17] op_sel:[0,0,1] op_sel_hi:[1,1,0] neg_lo:[0,0,1] neg_hi:[0,0,1]
	v_pk_fma_f32 v[54:55], v[2:3], v[54:55], v[16:17] op_sel:[0,0,1] op_sel_hi:[0,1,0]
	global_load_dwordx4 v[0:3], v[56:57], off offset:256
	v_pk_mul_f32 v[14:15], v[14:15], v[52:53] op_sel_hi:[0,1]
	v_pk_fma_f32 v[58:59], v[58:59], v[52:53], v[14:15] op_sel:[0,0,1] op_sel_hi:[1,1,0] neg_lo:[0,0,1] neg_hi:[0,0,1]
	v_pk_fma_f32 v[52:53], v[60:61], v[52:53], v[14:15] op_sel:[0,0,1] op_sel_hi:[0,1,0]
	global_load_dwordx4 v[14:17], v[56:57], off offset:272
	v_mul_f32_e32 v54, v45, v47
	v_mul_f32_e32 v47, v44, v47
	v_fmac_f32_e32 v47, v45, v46
	v_mul_f32_e32 v45, v35, v37
	v_mul_f32_e32 v56, v34, v37
	v_mul_f32_e32 v37, v27, v31
	v_mul_f32_e32 v60, v26, v31
	v_fma_f32 v57, v34, v36, -v45
	v_mov_b32_e32 v34, v43
	v_fma_f32 v61, v26, v30, -v37
	v_fmac_f32_e32 v60, v27, v30
	v_pk_mul_f32 v[26:27], v[18:19], v[42:43] op_sel:[1,0] op_sel_hi:[0,1]
	v_pk_mul_f32 v[30:31], v[18:19], v[34:35] op_sel:[1,0] op_sel_hi:[0,1]
	v_mov_b32_e32 v34, v27
	v_fmac_f32_e32 v56, v35, v36
	v_mov_b32_e32 v26, v41
	v_pk_fma_f32 v[30:31], v[18:19], v[42:43], v[30:31] neg_lo:[0,0,1] neg_hi:[0,0,1]
	v_pk_fma_f32 v[18:19], v[18:19], v[42:43], v[34:35] op_sel:[1,0,0] op_sel_hi:[0,1,1]
	v_pk_mul_f32 v[34:35], v[38:39], v[40:41] op_sel:[1,0] op_sel_hi:[0,1]
	v_pk_mul_f32 v[26:27], v[38:39], v[26:27] op_sel:[1,0] op_sel_hi:[0,1]
	v_mov_b32_e32 v36, v35
	v_mov_b32_e32 v34, v33
	v_pk_fma_f32 v[26:27], v[38:39], v[40:41], v[26:27] neg_lo:[0,0,1] neg_hi:[0,0,1]
	v_pk_fma_f32 v[36:37], v[38:39], v[40:41], v[36:37] op_sel:[1,0,0] op_sel_hi:[0,1,1]
	v_pk_mul_f32 v[38:39], v[28:29], v[32:33] op_sel:[1,0] op_sel_hi:[0,1]
	v_pk_mul_f32 v[34:35], v[28:29], v[34:35] op_sel:[1,0] op_sel_hi:[0,1]
	v_mov_b32_e32 v40, v39
	v_mov_b32_e32 v38, v25
	v_pk_fma_f32 v[34:35], v[28:29], v[32:33], v[34:35] neg_lo:[0,0,1] neg_hi:[0,0,1]
	v_pk_fma_f32 v[28:29], v[28:29], v[32:33], v[40:41] op_sel:[1,0,0] op_sel_hi:[0,1,1]
	v_pk_mul_f32 v[32:33], v[22:23], v[24:25] op_sel:[1,0] op_sel_hi:[0,1]
	v_mov_b32_e32 v52, v9
	v_fma_f32 v54, v44, v46, -v54
	v_mov_b32_e32 v44, v9
	v_pk_mul_f32 v[38:39], v[22:23], v[38:39] op_sel:[1,0] op_sel_hi:[0,1]
	v_mov_b32_e32 v40, v33
	v_mov_b32_e32 v32, v11
	v_pk_fma_f32 v[38:39], v[22:23], v[24:25], v[38:39] neg_lo:[0,0,1] neg_hi:[0,0,1]
	v_pk_fma_f32 v[22:23], v[22:23], v[24:25], v[40:41] op_sel:[1,0,0] op_sel_hi:[0,1,1]
	v_mov_b32_e32 v24, v11
	v_mov_b32_e32 v40, v7
	;; [unrolled: 1-line block ×4, first 2 shown]
	s_waitcnt vmcnt(1)
	v_pk_mul_f32 v[8:9], v[8:9], v[0:1] op_sel_hi:[0,1]
	v_pk_mul_f32 v[10:11], v[10:11], v[2:3] op_sel_hi:[0,1]
	v_pk_fma_f32 v[42:43], v[52:53], v[0:1], v[8:9] op_sel:[0,0,1] op_sel_hi:[1,1,0] neg_lo:[0,0,1] neg_hi:[0,0,1]
	v_pk_fma_f32 v[0:1], v[44:45], v[0:1], v[8:9] op_sel:[0,0,1] op_sel_hi:[0,1,0]
	v_mov_b32_e32 v0, v5
	v_pk_fma_f32 v[8:9], v[32:33], v[2:3], v[10:11] op_sel:[0,0,1] op_sel_hi:[1,1,0] neg_lo:[0,0,1] neg_hi:[0,0,1]
	s_waitcnt vmcnt(0)
	v_pk_mul_f32 v[32:33], v[4:5], v[14:15] op_sel:[0,1] op_sel_hi:[1,0]
	v_pk_fma_f32 v[2:3], v[24:25], v[2:3], v[10:11] op_sel:[0,0,1] op_sel_hi:[0,1,0]
	v_mov_b32_e32 v10, v17
	v_mov_b32_e32 v11, v16
	v_pk_mul_f32 v[24:25], v[0:1], v[14:15] op_sel:[0,1] op_sel_hi:[1,0]
	v_mov_b32_e32 v0, v33
	v_pk_mul_f32 v[16:17], v[6:7], v[16:17]
	v_pk_fma_f32 v[32:33], v[4:5], v[14:15], v[0:1] op_sel:[0,1,0] op_sel_hi:[1,0,1] neg_lo:[1,0,0] neg_hi:[1,0,0]
	v_pk_mul_f32 v[4:5], v[4:5], v[14:15]
	v_pk_mul_f32 v[14:15], v[40:41], v[10:11]
	;; [unrolled: 1-line block ×3, first 2 shown]
	v_mov_b32_e32 v17, v42
	v_mov_b32_e32 v0, v41
	;; [unrolled: 1-line block ×7, first 2 shown]
	v_pk_fma_f32 v[0:1], v[6:7], v[10:11], v[0:1] neg_lo:[1,0,0] neg_hi:[1,0,0]
	v_pk_add_f32 v[14:15], v[16:17], v[14:15]
	v_pk_add_f32 v[4:5], v[4:5], v[24:25]
	;; [unrolled: 1-line block ×4, first 2 shown]
	v_mov_b32_e32 v1, v14
	v_mov_b32_e32 v33, v4
	v_pk_add_f32 v[10:11], v[42:43], v[62:63] neg_lo:[0,1] neg_hi:[0,1]
	v_pk_add_f32 v[16:17], v[0:1], v[32:33] neg_lo:[0,1] neg_hi:[0,1]
	v_mov_b32_e32 v42, v7
	v_mov_b32_e32 v43, v32
	v_mov_b32_e32 v32, v3
	v_mov_b32_e32 v33, v0
	v_pk_add_f32 v[8:9], v[8:9], v[58:59] neg_lo:[0,1] neg_hi:[0,1]
	v_pk_add_f32 v[0:1], v[42:43], v[32:33]
	v_pk_add_f32 v[32:33], v[4:5], v[14:15]
	v_pk_add_f32 v[24:25], v[16:17], v[8:9] neg_lo:[0,1] neg_hi:[0,1]
	v_pk_add_f32 v[40:41], v[16:17], v[8:9]
	v_pk_add_f32 v[8:9], v[8:9], v[10:11] neg_lo:[0,1] neg_hi:[0,1]
	v_mov_b32_e32 v42, v32
	v_mov_b32_e32 v43, v1
	;; [unrolled: 1-line block ×3, first 2 shown]
	v_pk_add_f32 v[0:1], v[0:1], v[32:33]
	v_pk_mul_f32 v[8:9], v[8:9], s[14:15] op_sel_hi:[1,0]
	v_pk_add_f32 v[6:7], v[42:43], v[4:5] neg_lo:[0,1] neg_hi:[0,1]
	s_mov_b32 s14, 0x3d64c772
	v_pk_add_f32 v[20:21], v[20:21], v[0:1]
	v_mov_b32_e32 v14, v3
	v_pk_mul_f32 v[44:45], v[6:7], s[14:15] op_sel_hi:[1,0]
	v_pk_fma_f32 v[0:1], v[0:1], s[18:19], v[20:21] op_sel_hi:[1,0,1]
	v_pk_add_f32 v[2:3], v[4:5], v[14:15] neg_lo:[0,1] neg_hi:[0,1]
	s_mov_b32 s18, 0x3f3bfb3b
	v_pk_add_f32 v[40:41], v[40:41], v[10:11]
	v_pk_fma_f32 v[4:5], v[24:25], s[10:11], v[8:9] op_sel_hi:[1,0,1] neg_lo:[1,0,0] neg_hi:[1,0,0]
	v_pk_fma_f32 v[32:33], v[2:3], s[18:19], v[44:45] op_sel_hi:[1,0,1] neg_lo:[0,0,1] neg_hi:[0,0,1]
	v_pk_fma_f32 v[4:5], v[40:41], s[12:13], v[4:5] op_sel_hi:[1,0,1]
	v_pk_add_f32 v[32:33], v[32:33], v[0:1]
	v_pk_add_f32 v[14:15], v[14:15], v[42:43] neg_lo:[0,1] neg_hi:[0,1]
	v_pk_add_f32 v[44:45], v[32:33], v[4:5] neg_lo:[0,1] neg_hi:[0,1]
	v_pk_add_f32 v[4:5], v[4:5], v[32:33]
	v_pk_mul_f32 v[14:15], v[14:15], s[22:23] op_sel_hi:[1,0]
	v_mul_f32_e32 v32, v4, v47
	v_fma_f32 v33, v45, v54, -v32
	v_mul_f32_e32 v32, v45, v47
	v_mov_b32_e32 v46, v5
	v_mov_b32_e32 v47, v44
	v_fmac_f32_e32 v32, v4, v54
	v_mov_b32_e32 v4, v44
	v_pk_mul_f32 v[28:29], v[46:47], v[28:29] op_sel_hi:[1,0]
	v_pk_fma_f32 v[2:3], v[2:3], s[18:19], v[14:15] op_sel_hi:[1,0,1] neg_lo:[1,0,1] neg_hi:[1,0,1]
	v_pk_fma_f32 v[44:45], v[44:45], v[34:35], v[28:29]
	v_pk_fma_f32 v[4:5], v[4:5], v[34:35], v[28:29] op_sel_hi:[1,0,1] neg_lo:[0,0,1] neg_hi:[0,0,1]
	v_pk_add_f32 v[2:3], v[2:3], v[0:1]
	v_mov_b32_e32 v45, v5
	v_pk_add_f32 v[4:5], v[10:11], v[16:17] neg_lo:[0,1] neg_hi:[0,1]
	v_pk_mul_f32 v[22:23], v[20:21], v[22:23] op_sel_hi:[1,0]
	v_pk_mul_f32 v[10:11], v[4:5], s[20:21] op_sel_hi:[1,0]
	v_pk_fma_f32 v[4:5], v[4:5], s[20:21], v[8:9] op_sel_hi:[1,0,1] neg_lo:[1,0,1] neg_hi:[1,0,1]
	v_pk_fma_f32 v[28:29], v[20:21], v[38:39], v[22:23] op_sel:[0,0,1] op_sel_hi:[1,1,0]
	v_pk_fma_f32 v[4:5], v[40:41], s[12:13], v[4:5] op_sel_hi:[1,0,1]
	v_pk_fma_f32 v[20:21], v[20:21], v[38:39], v[22:23] op_sel:[0,0,1] op_sel_hi:[1,0,0] neg_lo:[0,0,1] neg_hi:[0,0,1]
	v_pk_add_f32 v[8:9], v[2:3], v[4:5] neg_lo:[0,1] neg_hi:[0,1]
	v_pk_add_f32 v[2:3], v[2:3], v[4:5]
	v_mov_b32_e32 v17, v8
	v_mov_b32_e32 v16, v3
	v_mov_b32_e32 v4, v8
	v_mov_b32_e32 v5, v3
	v_pk_mul_f32 v[16:17], v[16:17], v[36:37] op_sel_hi:[1,0]
	v_mov_b32_e32 v29, v21
	v_pk_fma_f32 v[20:21], v[8:9], v[26:27], v[16:17]
	v_pk_fma_f32 v[4:5], v[4:5], v[26:27], v[16:17] op_sel_hi:[1,0,1] neg_lo:[0,0,1] neg_hi:[0,0,1]
	v_mul_f32_e32 v3, v2, v56
	v_mul_f32_e32 v16, v9, v56
	v_fma_f32 v17, v9, v57, -v3
	v_fmac_f32_e32 v16, v2, v57
	v_mov_b32_e32 v21, v5
	v_pk_fma_f32 v[2:3], v[24:25], s[10:11], v[10:11] op_sel_hi:[1,0,1]
	v_pk_fma_f32 v[4:5], v[6:7], s[14:15], v[14:15] op_sel_hi:[1,0,1]
	;; [unrolled: 1-line block ×3, first 2 shown]
	v_pk_add_f32 v[0:1], v[4:5], v[0:1]
	ds_write_b64 v51, v[28:29]
	v_pk_add_f32 v[4:5], v[0:1], v[2:3] neg_lo:[0,1] neg_hi:[0,1]
	v_pk_add_f32 v[0:1], v[0:1], v[2:3]
	v_mov_b32_e32 v7, v4
	v_mov_b32_e32 v6, v1
	;; [unrolled: 1-line block ×4, first 2 shown]
	v_pk_mul_f32 v[6:7], v[6:7], v[18:19] op_sel_hi:[1,0]
	v_mul_f32_e32 v1, v0, v60
	v_pk_fma_f32 v[8:9], v[4:5], v[30:31], v[6:7]
	v_pk_fma_f32 v[2:3], v[2:3], v[30:31], v[6:7] op_sel_hi:[1,0,1] neg_lo:[0,0,1] neg_hi:[0,0,1]
	v_mul_f32_e32 v6, v5, v60
	v_fma_f32 v7, v5, v61, -v1
	v_fmac_f32_e32 v6, v0, v61
	v_mov_b32_e32 v9, v3
	ds_write2_b64 v50, v[44:45], v[32:33] offset0:120 offset1:160
	ds_write2_b64 v50, v[6:7], v[16:17] offset0:40 offset1:80
	;; [unrolled: 1-line block ×3, first 2 shown]
.LBB0_20:
	s_or_b64 exec, exec, s[8:9]
	s_waitcnt lgkmcnt(0)
	s_barrier
	s_and_saveexec_b64 s[8:9], s[0:1]
	s_cbranch_execz .LBB0_22
; %bb.21:
	v_mad_u64_u32 v[4:5], s[0:1], s6, v12, 0
	v_mov_b32_e32 v0, v5
	v_mad_u64_u32 v[0:1], s[0:1], s7, v12, v[0:1]
	v_mad_u64_u32 v[6:7], s[0:1], s4, v48, 0
	v_mov_b32_e32 v5, v0
	v_mov_b32_e32 v0, v7
	v_mad_u64_u32 v[0:1], s[0:1], s5, v48, v[0:1]
	v_mov_b32_e32 v7, v0
	v_mul_u32_u24_e32 v0, 0x8c0, v12
	v_add3_u32 v10, 0, v0, v49
	s_lshl_b64 s[0:1], s[2:3], 3
	ds_read2_b64 v[0:3], v10 offset1:56
	s_add_u32 s0, s16, s0
	s_addc_u32 s1, s17, s1
	v_lshl_add_u64 v[4:5], v[4:5], 3, s[0:1]
	v_lshl_add_u64 v[6:7], v[6:7], 3, v[4:5]
	s_waitcnt lgkmcnt(0)
	global_store_dwordx2 v[6:7], v[0:1], off
	v_mad_u64_u32 v[0:1], s[0:1], s4, v13, 0
	v_mov_b32_e32 v6, v1
	v_mad_u64_u32 v[6:7], s[0:1], s5, v13, v[6:7]
	v_mov_b32_e32 v1, v6
	v_lshl_add_u64 v[0:1], v[0:1], 3, v[4:5]
	v_add_u32_e32 v9, 0x70, v48
	global_store_dwordx2 v[0:1], v[2:3], off
	v_mad_u64_u32 v[6:7], s[0:1], s4, v9, 0
	ds_read2_b64 v[0:3], v10 offset0:112 offset1:168
	v_mov_b32_e32 v8, v7
	v_mad_u64_u32 v[8:9], s[0:1], s5, v9, v[8:9]
	v_mov_b32_e32 v7, v8
	v_lshl_add_u64 v[6:7], v[6:7], 3, v[4:5]
	s_waitcnt lgkmcnt(0)
	global_store_dwordx2 v[6:7], v[0:1], off
	v_add_u32_e32 v7, 0xa8, v48
	v_mad_u64_u32 v[0:1], s[0:1], s4, v7, 0
	v_mov_b32_e32 v6, v1
	v_mad_u64_u32 v[6:7], s[0:1], s5, v7, v[6:7]
	v_mov_b32_e32 v1, v6
	v_lshl_add_u64 v[0:1], v[0:1], 3, v[4:5]
	global_store_dwordx2 v[0:1], v[2:3], off
	v_add_u32_e32 v3, 0xe0, v48
	v_mad_u64_u32 v[0:1], s[0:1], s4, v3, 0
	ds_read_b64 v[6:7], v10 offset:1792
	v_mov_b32_e32 v2, v1
	v_mad_u64_u32 v[2:3], s[0:1], s5, v3, v[2:3]
	v_mov_b32_e32 v1, v2
	v_lshl_add_u64 v[0:1], v[0:1], 3, v[4:5]
	s_waitcnt lgkmcnt(0)
	global_store_dwordx2 v[0:1], v[6:7], off
.LBB0_22:
	s_endpgm
	.section	.rodata,"a",@progbits
	.p2align	6, 0x0
	.amdhsa_kernel fft_rtc_back_len280_factors_8_5_7_wgs_392_tpt_56_sp_ip_CI_sbcc_twdbase8_2step
		.amdhsa_group_segment_fixed_size 0
		.amdhsa_private_segment_fixed_size 0
		.amdhsa_kernarg_size 96
		.amdhsa_user_sgpr_count 2
		.amdhsa_user_sgpr_dispatch_ptr 0
		.amdhsa_user_sgpr_queue_ptr 0
		.amdhsa_user_sgpr_kernarg_segment_ptr 1
		.amdhsa_user_sgpr_dispatch_id 0
		.amdhsa_user_sgpr_kernarg_preload_length 0
		.amdhsa_user_sgpr_kernarg_preload_offset 0
		.amdhsa_user_sgpr_private_segment_size 0
		.amdhsa_uses_dynamic_stack 0
		.amdhsa_enable_private_segment 0
		.amdhsa_system_sgpr_workgroup_id_x 1
		.amdhsa_system_sgpr_workgroup_id_y 0
		.amdhsa_system_sgpr_workgroup_id_z 0
		.amdhsa_system_sgpr_workgroup_info 0
		.amdhsa_system_vgpr_workitem_id 0
		.amdhsa_next_free_vgpr 64
		.amdhsa_next_free_sgpr 45
		.amdhsa_accum_offset 64
		.amdhsa_reserve_vcc 1
		.amdhsa_float_round_mode_32 0
		.amdhsa_float_round_mode_16_64 0
		.amdhsa_float_denorm_mode_32 3
		.amdhsa_float_denorm_mode_16_64 3
		.amdhsa_dx10_clamp 1
		.amdhsa_ieee_mode 1
		.amdhsa_fp16_overflow 0
		.amdhsa_tg_split 0
		.amdhsa_exception_fp_ieee_invalid_op 0
		.amdhsa_exception_fp_denorm_src 0
		.amdhsa_exception_fp_ieee_div_zero 0
		.amdhsa_exception_fp_ieee_overflow 0
		.amdhsa_exception_fp_ieee_underflow 0
		.amdhsa_exception_fp_ieee_inexact 0
		.amdhsa_exception_int_div_zero 0
	.end_amdhsa_kernel
	.text
.Lfunc_end0:
	.size	fft_rtc_back_len280_factors_8_5_7_wgs_392_tpt_56_sp_ip_CI_sbcc_twdbase8_2step, .Lfunc_end0-fft_rtc_back_len280_factors_8_5_7_wgs_392_tpt_56_sp_ip_CI_sbcc_twdbase8_2step
                                        ; -- End function
	.section	.AMDGPU.csdata,"",@progbits
; Kernel info:
; codeLenInByte = 5216
; NumSgprs: 51
; NumVgprs: 64
; NumAgprs: 0
; TotalNumVgprs: 64
; ScratchSize: 0
; MemoryBound: 0
; FloatMode: 240
; IeeeMode: 1
; LDSByteSize: 0 bytes/workgroup (compile time only)
; SGPRBlocks: 6
; VGPRBlocks: 7
; NumSGPRsForWavesPerEU: 51
; NumVGPRsForWavesPerEU: 64
; AccumOffset: 64
; Occupancy: 7
; WaveLimiterHint : 1
; COMPUTE_PGM_RSRC2:SCRATCH_EN: 0
; COMPUTE_PGM_RSRC2:USER_SGPR: 2
; COMPUTE_PGM_RSRC2:TRAP_HANDLER: 0
; COMPUTE_PGM_RSRC2:TGID_X_EN: 1
; COMPUTE_PGM_RSRC2:TGID_Y_EN: 0
; COMPUTE_PGM_RSRC2:TGID_Z_EN: 0
; COMPUTE_PGM_RSRC2:TIDIG_COMP_CNT: 0
; COMPUTE_PGM_RSRC3_GFX90A:ACCUM_OFFSET: 15
; COMPUTE_PGM_RSRC3_GFX90A:TG_SPLIT: 0
	.text
	.p2alignl 6, 3212836864
	.fill 256, 4, 3212836864
	.type	__hip_cuid_dd544f79caad8420,@object ; @__hip_cuid_dd544f79caad8420
	.section	.bss,"aw",@nobits
	.globl	__hip_cuid_dd544f79caad8420
__hip_cuid_dd544f79caad8420:
	.byte	0                               ; 0x0
	.size	__hip_cuid_dd544f79caad8420, 1

	.ident	"AMD clang version 19.0.0git (https://github.com/RadeonOpenCompute/llvm-project roc-6.4.0 25133 c7fe45cf4b819c5991fe208aaa96edf142730f1d)"
	.section	".note.GNU-stack","",@progbits
	.addrsig
	.addrsig_sym __hip_cuid_dd544f79caad8420
	.amdgpu_metadata
---
amdhsa.kernels:
  - .agpr_count:     0
    .args:
      - .actual_access:  read_only
        .address_space:  global
        .offset:         0
        .size:           8
        .value_kind:     global_buffer
      - .address_space:  global
        .offset:         8
        .size:           8
        .value_kind:     global_buffer
      - .offset:         16
        .size:           8
        .value_kind:     by_value
      - .actual_access:  read_only
        .address_space:  global
        .offset:         24
        .size:           8
        .value_kind:     global_buffer
      - .actual_access:  read_only
        .address_space:  global
        .offset:         32
        .size:           8
        .value_kind:     global_buffer
      - .offset:         40
        .size:           8
        .value_kind:     by_value
      - .actual_access:  read_only
        .address_space:  global
        .offset:         48
        .size:           8
        .value_kind:     global_buffer
      - .actual_access:  read_only
        .address_space:  global
        .offset:         56
        .size:           8
        .value_kind:     global_buffer
      - .offset:         64
        .size:           4
        .value_kind:     by_value
      - .actual_access:  read_only
        .address_space:  global
        .offset:         72
        .size:           8
        .value_kind:     global_buffer
      - .actual_access:  read_only
        .address_space:  global
        .offset:         80
        .size:           8
        .value_kind:     global_buffer
      - .address_space:  global
        .offset:         88
        .size:           8
        .value_kind:     global_buffer
    .group_segment_fixed_size: 0
    .kernarg_segment_align: 8
    .kernarg_segment_size: 96
    .language:       OpenCL C
    .language_version:
      - 2
      - 0
    .max_flat_workgroup_size: 392
    .name:           fft_rtc_back_len280_factors_8_5_7_wgs_392_tpt_56_sp_ip_CI_sbcc_twdbase8_2step
    .private_segment_fixed_size: 0
    .sgpr_count:     51
    .sgpr_spill_count: 0
    .symbol:         fft_rtc_back_len280_factors_8_5_7_wgs_392_tpt_56_sp_ip_CI_sbcc_twdbase8_2step.kd
    .uniform_work_group_size: 1
    .uses_dynamic_stack: false
    .vgpr_count:     64
    .vgpr_spill_count: 0
    .wavefront_size: 64
amdhsa.target:   amdgcn-amd-amdhsa--gfx950
amdhsa.version:
  - 1
  - 2
...

	.end_amdgpu_metadata
